;; amdgpu-corpus repo=triton-lang/triton kind=triton arch=gfx950 opt=O3 lang=triton
	.amdgcn_target "amdgcn-amd-amdhsa--gfx950"
	.amdhsa_code_object_version 5
	.text
	.globl	fused_bias_gelu_kernel          ; -- Begin function fused_bias_gelu_kernel
	.p2align	8
	.type	fused_bias_gelu_kernel,@function
fused_bias_gelu_kernel:                 ; @fused_bias_gelu_kernel
.Lfunc_begin0:
	.cfi_sections .debug_frame
	.cfi_startproc
; %bb.25:
	.file	1 "/root/src/amdgpu-assembly/repos/triton-lang__triton-aot" "fused_gelu.py"
	.loc	1 7 0 prologue_end              ; fused_gelu.py:7:0
	s_load_dwordx2 s[2:3], s[0:1], 0x0
	s_load_dwordx8 s[4:11], s[0:1], 0x8
	s_load_dwordx2 s[12:13], s[0:1], 0x28
	s_waitcnt lgkmcnt(0)
	s_branch .LBB0_0
	.loc	1 0 0 is_stmt 0                 ; :0:0
.Ltmp0:
	.p2align	8
; %bb.26:
.LBB0_0:
.Ltmp1:
	.loc	1 10 46 is_stmt 1               ; fused_gelu.py:10:46
	v_readfirstlane_b32 s0, v0
	.loc	1 21 32                         ; fused_gelu.py:21:32
	s_and_b32 s0, s0, 0x1c0
	.loc	1 12 16                         ; fused_gelu.py:12:16
	v_mov_b32_e32 v7, 0
	.loc	1 10 46                         ; fused_gelu.py:10:46
	v_and_or_b32 v0, v0, 63, s0
	.loc	1 10 33 is_stmt 0               ; fused_gelu.py:10:33
	v_lshl_or_b32 v0, s14, 11, v0
	.loc	1 12 24 is_stmt 1               ; fused_gelu.py:12:24
	v_ashrrev_i32_e32 v1, 31, v0
	.loc	1 11 21                         ; fused_gelu.py:11:21
	v_cmp_gt_i32_e64 s[10:11], s8, v0
	.loc	1 12 24                         ; fused_gelu.py:12:24
	v_lshl_add_u64 v[2:3], v[0:1], 1, s[2:3]
	v_mov_b32_e32 v6, v7
	.loc	1 12 16 is_stmt 0               ; fused_gelu.py:12:16
	s_and_saveexec_b64 s[0:1], s[10:11]
	s_cbranch_execz .LBB0_2
; %bb.1:
	global_load_ushort v6, v[2:3], off
.LBB0_2:
	.loc	1 0 16                          ; fused_gelu.py:0:16
	s_or_b64 exec, exec, s[0:1]
	.loc	1 10 33 is_stmt 1               ; fused_gelu.py:10:33
	v_or_b32_e32 v8, 0x200, v0
	.loc	1 11 21                         ; fused_gelu.py:11:21
	v_cmp_gt_i32_e64 s[12:13], s8, v8
	.loc	1 12 16                         ; fused_gelu.py:12:16
	s_and_saveexec_b64 s[0:1], s[12:13]
	s_cbranch_execz .LBB0_4
; %bb.3:
	global_load_ushort v7, v[2:3], off offset:1024
.LBB0_4:
	.loc	1 0 16 is_stmt 0                ; fused_gelu.py:0:16
	s_or_b64 exec, exec, s[0:1]
	.loc	1 10 33 is_stmt 1               ; fused_gelu.py:10:33
	v_or_b32_e32 v11, 0x400, v0
	.loc	1 12 16                         ; fused_gelu.py:12:16
	v_mov_b32_e32 v5, 0
	.loc	1 11 21                         ; fused_gelu.py:11:21
	v_cmp_gt_i32_e64 s[0:1], s8, v11
	v_mov_b32_e32 v4, v5
	.loc	1 12 16                         ; fused_gelu.py:12:16
	s_and_saveexec_b64 s[2:3], s[0:1]
	s_cbranch_execz .LBB0_6
; %bb.5:
	global_load_ushort v4, v[2:3], off offset:2048
.LBB0_6:
	.loc	1 0 16 is_stmt 0                ; fused_gelu.py:0:16
	s_or_b64 exec, exec, s[2:3]
	.loc	1 10 33 is_stmt 1               ; fused_gelu.py:10:33
	v_or_b32_e32 v10, 0x600, v0
	.loc	1 11 21                         ; fused_gelu.py:11:21
	v_cmp_gt_i32_e64 s[2:3], s8, v10
	.loc	1 12 16                         ; fused_gelu.py:12:16
	s_and_saveexec_b64 s[14:15], s[2:3]
	s_cbranch_execz .LBB0_8
; %bb.7:
	global_load_ushort v5, v[2:3], off offset:3072
.LBB0_8:
	.loc	1 0 16 is_stmt 0                ; fused_gelu.py:0:16
	s_or_b64 exec, exec, s[14:15]
	.loc	1 13 37 is_stmt 1               ; fused_gelu.py:13:37
	s_abs_i32 s14, s9
	v_cvt_f32_u32_e32 v2, s14
	s_sub_i32 s8, 0, s14
	v_rcp_iflag_f32_e32 v2, v2
	s_nop 0
	v_mul_f32_e32 v2, 0x4f7ffffe, v2
	v_cvt_u32_f32_e32 v3, v2
	.loc	1 13 16 is_stmt 0               ; fused_gelu.py:13:16
	v_mov_b32_e32 v2, 0
	.loc	1 13 37                         ; fused_gelu.py:13:37
	v_mul_lo_u32 v9, s8, v3
	v_mul_hi_u32 v9, v3, v9
	v_add_u32_e32 v12, v3, v9
	v_mov_b32_e32 v3, v2
	.loc	1 13 16                         ; fused_gelu.py:13:16
	s_and_saveexec_b64 s[8:9], s[10:11]
	s_cbranch_execz .LBB0_10
; %bb.9:
	.loc	1 13 37                         ; fused_gelu.py:13:37
	v_sub_u32_e32 v9, 0, v0
	v_max_i32_e32 v9, v9, v0
	v_mul_hi_u32 v13, v9, v12
	v_mul_lo_u32 v13, v13, s14
	v_sub_u32_e32 v9, v9, v13
	v_subrev_u32_e32 v13, s14, v9
	v_cmp_le_u32_e32 vcc, s14, v9
	v_ashrrev_i32_e32 v3, 31, v0
	s_nop 0
	v_cndmask_b32_e32 v9, v9, v13, vcc
	v_subrev_u32_e32 v13, s14, v9
	v_cmp_le_u32_e32 vcc, s14, v9
	s_nop 1
	v_cndmask_b32_e32 v9, v9, v13, vcc
	v_xor_b32_e32 v9, v9, v3
	v_sub_u32_e32 v14, v9, v3
	.loc	1 13 27                         ; fused_gelu.py:13:27
	v_ashrrev_i32_e32 v15, 31, v14
	v_lshl_add_u64 v[14:15], v[14:15], 1, s[4:5]
	.loc	1 13 16                         ; fused_gelu.py:13:16
	global_load_ushort v3, v[14:15], off
.LBB0_10:
	.loc	1 0 16                          ; fused_gelu.py:0:16
	s_or_b64 exec, exec, s[8:9]
	.loc	1 13 16                         ; fused_gelu.py:13:16
	s_and_saveexec_b64 s[8:9], s[12:13]
	s_cbranch_execz .LBB0_12
; %bb.11:
	.loc	1 0 16                          ; fused_gelu.py:0:16
	v_sub_u32_e32 v2, 0, v8
	v_max_i32_e32 v2, v2, v8
	v_mad_u64_u32 v[14:15], s[16:17], v2, v12, 0
	.loc	1 13 37                         ; fused_gelu.py:13:37
	v_mul_lo_u32 v9, v15, s14
	v_sub_u32_e32 v2, v2, v9
	v_subrev_u32_e32 v9, s14, v2
	v_cmp_le_u32_e32 vcc, s14, v2
	v_ashrrev_i32_e32 v8, 31, v8
	s_nop 0
	v_cndmask_b32_e32 v2, v2, v9, vcc
	v_subrev_u32_e32 v9, s14, v2
	v_cmp_le_u32_e32 vcc, s14, v2
	s_nop 1
	v_cndmask_b32_e32 v2, v2, v9, vcc
	v_xor_b32_e32 v2, v2, v8
	v_sub_u32_e32 v8, v2, v8
	.loc	1 13 27                         ; fused_gelu.py:13:27
	v_ashrrev_i32_e32 v9, 31, v8
	v_lshl_add_u64 v[8:9], v[8:9], 1, s[4:5]
	.loc	1 13 16                         ; fused_gelu.py:13:16
	global_load_ushort v2, v[8:9], off
.LBB0_12:
	.loc	1 0 16                          ; fused_gelu.py:0:16
	s_or_b64 exec, exec, s[8:9]
	.loc	1 13 16                         ; fused_gelu.py:13:16
	v_mov_b32_e32 v9, 0
	v_mov_b32_e32 v8, v9
	s_and_saveexec_b64 s[8:9], s[0:1]
	s_cbranch_execz .LBB0_14
; %bb.13:
	.loc	1 0 16                          ; fused_gelu.py:0:16
	v_sub_u32_e32 v8, 0, v11
	v_max_i32_e32 v8, v8, v11
	v_mad_u64_u32 v[14:15], s[16:17], v8, v12, 0
	.loc	1 13 37                         ; fused_gelu.py:13:37
	v_mul_lo_u32 v13, v15, s14
	v_sub_u32_e32 v8, v8, v13
	v_subrev_u32_e32 v13, s14, v8
	v_cmp_le_u32_e32 vcc, s14, v8
	v_ashrrev_i32_e32 v11, 31, v11
	s_nop 0
	v_cndmask_b32_e32 v8, v8, v13, vcc
	v_subrev_u32_e32 v13, s14, v8
	v_cmp_le_u32_e32 vcc, s14, v8
	s_nop 1
	v_cndmask_b32_e32 v8, v8, v13, vcc
	v_xor_b32_e32 v8, v8, v11
	v_sub_u32_e32 v14, v8, v11
	.loc	1 13 27                         ; fused_gelu.py:13:27
	v_ashrrev_i32_e32 v15, 31, v14
	v_lshl_add_u64 v[14:15], v[14:15], 1, s[4:5]
	.loc	1 13 16                         ; fused_gelu.py:13:16
	global_load_ushort v8, v[14:15], off
.LBB0_14:
	.loc	1 0 16                          ; fused_gelu.py:0:16
	s_or_b64 exec, exec, s[8:9]
	.loc	1 13 16                         ; fused_gelu.py:13:16
	s_and_saveexec_b64 s[8:9], s[2:3]
	s_cbranch_execz .LBB0_16
; %bb.15:
	.loc	1 0 16                          ; fused_gelu.py:0:16
	v_sub_u32_e32 v9, 0, v10
	v_max_i32_e32 v9, v9, v10
	v_mad_u64_u32 v[12:13], s[16:17], v9, v12, 0
	.loc	1 13 37                         ; fused_gelu.py:13:37
	v_mul_lo_u32 v11, v13, s14
	v_sub_u32_e32 v9, v9, v11
	v_subrev_u32_e32 v11, s14, v9
	v_cmp_le_u32_e32 vcc, s14, v9
	v_ashrrev_i32_e32 v10, 31, v10
	s_nop 0
	v_cndmask_b32_e32 v9, v9, v11, vcc
	v_subrev_u32_e32 v11, s14, v9
	v_cmp_le_u32_e32 vcc, s14, v9
	s_nop 1
	v_cndmask_b32_e32 v9, v9, v11, vcc
	v_xor_b32_e32 v9, v9, v10
	v_sub_u32_e32 v10, v9, v10
	.loc	1 13 27                         ; fused_gelu.py:13:27
	v_ashrrev_i32_e32 v11, 31, v10
	v_lshl_add_u64 v[10:11], v[10:11], 1, s[4:5]
	.loc	1 13 16                         ; fused_gelu.py:13:16
	global_load_ushort v9, v[10:11], off
.LBB0_16:
	.loc	1 0 16                          ; fused_gelu.py:0:16
	s_or_b64 exec, exec, s[8:9]
	.loc	1 12 58 is_stmt 1               ; fused_gelu.py:12:58
	s_waitcnt vmcnt(0)
	v_cvt_f32_f16_e32 v7, v7
	v_cvt_f32_f16_e32 v6, v6
	.loc	1 13 70                         ; fused_gelu.py:13:70
	v_cvt_f32_f16_e32 v11, v2
	v_cvt_f32_f16_e32 v10, v3
	s_mov_b32 s4, 0xc2fc0000
	.loc	1 21 23                         ; fused_gelu.py:21:23
	v_lshl_add_u64 v[0:1], v[0:1], 1, s[6:7]
	.loc	1 14 12                         ; fused_gelu.py:14:12
	v_pk_add_f32 v[2:3], v[6:7], v[10:11]
	.loc	1 17 32                         ; fused_gelu.py:17:32
	s_nop 0
	v_mul_f32_e32 v6, 0x3d372713, v2
	v_mul_f32_e32 v7, 0x3d372713, v3
	.loc	1 17 36 is_stmt 0               ; fused_gelu.py:17:36
	v_mul_f32_e32 v6, v2, v6
	v_mul_f32_e32 v7, v3, v7
	.loc	1 17 21                         ; fused_gelu.py:17:21
	v_fma_f32 v6, v2, v6, v2
	v_fma_f32 v7, v3, v7, v3
	.loc	1 17 17                         ; fused_gelu.py:17:17
	v_mul_f32_e32 v6, 0x3f4c422a, v6
	v_mul_f32_e32 v7, 0x3f4c422a, v7
	.loc	1 18 22 is_stmt 1               ; fused_gelu.py:18:22
	v_add_f32_e32 v6, v6, v6
	v_add_f32_e32 v7, v7, v7
	.loc	1 18 16 is_stmt 0               ; fused_gelu.py:18:16
	v_mul_f32_e32 v10, 0x3fb8aa3b, v6
	v_mul_f32_e32 v12, 0x3fb8aa3b, v7
	v_mov_b32_e32 v11, 0x42800000
	v_cmp_gt_f32_e32 vcc, s4, v10
	v_cmp_gt_f32_e64 s[4:5], s4, v12
	.loc	1 20 14 is_stmt 1               ; fused_gelu.py:20:14
	v_pk_mul_f32 v[2:3], v[2:3], 0.5 op_sel_hi:[1,0]
	.loc	1 18 16                         ; fused_gelu.py:18:16
	v_cndmask_b32_e32 v10, 0, v11, vcc
	v_cndmask_b32_e64 v11, 0, v11, s[4:5]
	v_fmac_f32_e32 v10, 0x3fb8aa3b, v6
	v_fmac_f32_e32 v11, 0x3fb8aa3b, v7
	v_exp_f32_e32 v6, v10
	v_exp_f32_e32 v7, v11
	v_not_b32_e32 v10, 63
	v_cndmask_b32_e32 v11, 0, v10, vcc
	v_cndmask_b32_e64 v10, 0, v10, s[4:5]
	v_ldexp_f32 v6, v6, v11
	v_ldexp_f32 v7, v7, v10
	.loc	1 19 23                         ; fused_gelu.py:19:23
	v_pk_add_f32 v[10:11], v[6:7], -1.0 op_sel_hi:[1,0]
	.loc	1 19 36 is_stmt 0               ; fused_gelu.py:19:36
	v_pk_add_f32 v[6:7], v[6:7], 1.0 op_sel_hi:[1,0]
	.loc	1 19 31                         ; fused_gelu.py:19:31
	s_nop 0
	v_div_scale_f32 v12, s[4:5], v7, v7, v11
	v_rcp_f32_e32 v13, v12
	s_nop 0
	v_fma_f32 v14, -v12, v13, 1.0
	v_fmac_f32_e32 v13, v14, v13
	v_div_scale_f32 v14, vcc, v11, v7, v11
	v_mul_f32_e32 v15, v14, v13
	v_fma_f32 v16, -v12, v15, v14
	v_fmac_f32_e32 v15, v16, v13
	v_fma_f32 v12, -v12, v15, v14
	v_div_scale_f32 v14, s[4:5], v6, v6, v10
	v_rcp_f32_e32 v16, v14
	v_div_fmas_f32 v12, v12, v13, v15
	v_div_fixup_f32 v7, v12, v7, v11
	v_fma_f32 v11, -v14, v16, 1.0
	v_fmac_f32_e32 v16, v11, v16
	v_div_scale_f32 v11, vcc, v10, v6, v10
	v_mul_f32_e32 v12, v11, v16
	v_fma_f32 v13, -v14, v12, v11
	v_fmac_f32_e32 v12, v13, v16
	v_fma_f32 v11, -v14, v12, v11
	v_div_fmas_f32 v11, v11, v16, v12
	v_div_fixup_f32 v6, v11, v6, v10
	.loc	1 20 25 is_stmt 1               ; fused_gelu.py:20:25
	v_pk_add_f32 v[6:7], v[6:7], 1.0 op_sel_hi:[1,0]
	.loc	1 20 19 is_stmt 0               ; fused_gelu.py:20:19
	s_nop 0
	v_pk_mul_f32 v[2:3], v[2:3], v[6:7]
	.loc	1 21 32 is_stmt 1               ; fused_gelu.py:21:32
	s_and_saveexec_b64 s[4:5], s[10:11]
	s_cbranch_execz .LBB0_18
; %bb.17:
	.loc	1 0 32 is_stmt 0                ; fused_gelu.py:0:32
	v_cvt_f16_f32_e32 v2, v2
	.loc	1 21 32                         ; fused_gelu.py:21:32
	global_store_short v[0:1], v2, off
.LBB0_18:
	.loc	1 0 32                          ; fused_gelu.py:0:32
	s_or_b64 exec, exec, s[4:5]
	.loc	1 21 32                         ; fused_gelu.py:21:32
	s_and_saveexec_b64 s[4:5], s[12:13]
	s_cbranch_execz .LBB0_20
; %bb.19:
	.loc	1 0 32                          ; fused_gelu.py:0:32
	v_cvt_f16_f32_e32 v2, v3
	.loc	1 21 32                         ; fused_gelu.py:21:32
	global_store_short v[0:1], v2, off offset:1024
.LBB0_20:
	.loc	1 0 32                          ; fused_gelu.py:0:32
	s_or_b64 exec, exec, s[4:5]
	.loc	1 12 58 is_stmt 1               ; fused_gelu.py:12:58
	v_cvt_f32_f16_e32 v3, v5
	v_cvt_f32_f16_e32 v2, v4
	.loc	1 13 70                         ; fused_gelu.py:13:70
	v_cvt_f32_f16_e32 v5, v9
	v_cvt_f32_f16_e32 v4, v8
	s_mov_b32 s4, 0xc2fc0000
	.loc	1 18 16                         ; fused_gelu.py:18:16
	v_mov_b32_e32 v7, 0x42800000
	.loc	1 14 12                         ; fused_gelu.py:14:12
	v_pk_add_f32 v[2:3], v[2:3], v[4:5]
	.loc	1 17 32                         ; fused_gelu.py:17:32
	s_nop 0
	v_mul_f32_e32 v4, 0x3d372713, v2
	v_mul_f32_e32 v5, 0x3d372713, v3
	.loc	1 17 36 is_stmt 0               ; fused_gelu.py:17:36
	v_mul_f32_e32 v4, v2, v4
	v_mul_f32_e32 v5, v3, v5
	.loc	1 17 21                         ; fused_gelu.py:17:21
	v_fma_f32 v4, v2, v4, v2
	v_fma_f32 v5, v3, v5, v3
	.loc	1 17 17                         ; fused_gelu.py:17:17
	v_mul_f32_e32 v4, 0x3f4c422a, v4
	v_mul_f32_e32 v5, 0x3f4c422a, v5
	.loc	1 18 22 is_stmt 1               ; fused_gelu.py:18:22
	v_add_f32_e32 v4, v4, v4
	v_add_f32_e32 v5, v5, v5
	.loc	1 18 16 is_stmt 0               ; fused_gelu.py:18:16
	v_mul_f32_e32 v6, 0x3fb8aa3b, v4
	v_mul_f32_e32 v8, 0x3fb8aa3b, v5
	v_cmp_gt_f32_e32 vcc, s4, v6
	v_cmp_gt_f32_e64 s[4:5], s4, v8
	.loc	1 20 14 is_stmt 1               ; fused_gelu.py:20:14
	v_pk_mul_f32 v[2:3], v[2:3], 0.5 op_sel_hi:[1,0]
	.loc	1 18 16                         ; fused_gelu.py:18:16
	v_cndmask_b32_e32 v6, 0, v7, vcc
	v_cndmask_b32_e64 v7, 0, v7, s[4:5]
	v_fmac_f32_e32 v6, 0x3fb8aa3b, v4
	v_fmac_f32_e32 v7, 0x3fb8aa3b, v5
	v_exp_f32_e32 v4, v6
	v_exp_f32_e32 v5, v7
	v_not_b32_e32 v6, 63
	v_cndmask_b32_e32 v7, 0, v6, vcc
	v_cndmask_b32_e64 v6, 0, v6, s[4:5]
	v_ldexp_f32 v4, v4, v7
	v_ldexp_f32 v5, v5, v6
	.loc	1 19 23                         ; fused_gelu.py:19:23
	v_pk_add_f32 v[6:7], v[4:5], -1.0 op_sel_hi:[1,0]
	.loc	1 19 36 is_stmt 0               ; fused_gelu.py:19:36
	v_pk_add_f32 v[4:5], v[4:5], 1.0 op_sel_hi:[1,0]
	.loc	1 19 31                         ; fused_gelu.py:19:31
	s_nop 0
	v_div_scale_f32 v8, s[4:5], v5, v5, v7
	v_rcp_f32_e32 v9, v8
	s_nop 0
	v_fma_f32 v10, -v8, v9, 1.0
	v_fmac_f32_e32 v9, v10, v9
	v_div_scale_f32 v10, vcc, v7, v5, v7
	v_mul_f32_e32 v11, v10, v9
	v_fma_f32 v12, -v8, v11, v10
	v_fmac_f32_e32 v11, v12, v9
	v_fma_f32 v8, -v8, v11, v10
	v_div_scale_f32 v10, s[4:5], v4, v4, v6
	v_rcp_f32_e32 v12, v10
	v_div_fmas_f32 v8, v8, v9, v11
	v_div_fixup_f32 v5, v8, v5, v7
	v_fma_f32 v7, -v10, v12, 1.0
	v_fmac_f32_e32 v12, v7, v12
	v_div_scale_f32 v7, vcc, v6, v4, v6
	v_mul_f32_e32 v8, v7, v12
	v_fma_f32 v9, -v10, v8, v7
	v_fmac_f32_e32 v8, v9, v12
	v_fma_f32 v7, -v10, v8, v7
	v_div_fmas_f32 v7, v7, v12, v8
	v_div_fixup_f32 v4, v7, v4, v6
	.loc	1 20 25 is_stmt 1               ; fused_gelu.py:20:25
	v_pk_add_f32 v[4:5], v[4:5], 1.0 op_sel_hi:[1,0]
	.loc	1 20 19 is_stmt 0               ; fused_gelu.py:20:19
	s_nop 0
	v_pk_mul_f32 v[2:3], v[2:3], v[4:5]
	.loc	1 21 32 is_stmt 1               ; fused_gelu.py:21:32
	s_and_saveexec_b64 s[4:5], s[0:1]
	s_cbranch_execnz .LBB0_23
; %bb.21:
	.loc	1 0 32 is_stmt 0                ; fused_gelu.py:0:32
	s_or_b64 exec, exec, s[4:5]
	.loc	1 21 32                         ; fused_gelu.py:21:32
	s_and_saveexec_b64 s[0:1], s[2:3]
	s_cbranch_execnz .LBB0_24
.LBB0_22:
	.loc	1 21 4                          ; fused_gelu.py:21:4
	s_endpgm
.LBB0_23:
	.loc	1 0 4                           ; fused_gelu.py:0:4
	v_cvt_f16_f32_e32 v2, v2
	.loc	1 21 32                         ; fused_gelu.py:21:32
	global_store_short v[0:1], v2, off offset:2048
	s_or_b64 exec, exec, s[4:5]
	s_and_saveexec_b64 s[0:1], s[2:3]
	s_cbranch_execz .LBB0_22
.LBB0_24:
	.loc	1 0 32                          ; fused_gelu.py:0:32
	v_cvt_f16_f32_e32 v2, v3
	.loc	1 21 32                         ; fused_gelu.py:21:32
	global_store_short v[0:1], v2, off offset:3072
	.loc	1 21 4                          ; fused_gelu.py:21:4
	s_endpgm
.Ltmp2:
	.section	.rodata,"a",@progbits
	.p2align	6, 0x0
	.amdhsa_kernel fused_bias_gelu_kernel
		.amdhsa_group_segment_fixed_size 0
		.amdhsa_private_segment_fixed_size 0
		.amdhsa_kernarg_size 48
		.amdhsa_user_sgpr_count 14
		.amdhsa_user_sgpr_dispatch_ptr 0
		.amdhsa_user_sgpr_queue_ptr 0
		.amdhsa_user_sgpr_kernarg_segment_ptr 1
		.amdhsa_user_sgpr_dispatch_id 0
		.amdhsa_user_sgpr_kernarg_preload_length 12
		.amdhsa_user_sgpr_kernarg_preload_offset 0
		.amdhsa_user_sgpr_private_segment_size 0
		.amdhsa_uses_dynamic_stack 0
		.amdhsa_enable_private_segment 0
		.amdhsa_system_sgpr_workgroup_id_x 1
		.amdhsa_system_sgpr_workgroup_id_y 0
		.amdhsa_system_sgpr_workgroup_id_z 0
		.amdhsa_system_sgpr_workgroup_info 0
		.amdhsa_system_vgpr_workitem_id 0
		.amdhsa_next_free_vgpr 17
		.amdhsa_next_free_sgpr 18
		.amdhsa_accum_offset 20
		.amdhsa_reserve_vcc 1
		.amdhsa_reserve_xnack_mask 1
		.amdhsa_float_round_mode_32 0
		.amdhsa_float_round_mode_16_64 0
		.amdhsa_float_denorm_mode_32 3
		.amdhsa_float_denorm_mode_16_64 3
		.amdhsa_dx10_clamp 1
		.amdhsa_ieee_mode 1
		.amdhsa_fp16_overflow 0
		.amdhsa_tg_split 0
		.amdhsa_exception_fp_ieee_invalid_op 0
		.amdhsa_exception_fp_denorm_src 0
		.amdhsa_exception_fp_ieee_div_zero 0
		.amdhsa_exception_fp_ieee_overflow 0
		.amdhsa_exception_fp_ieee_underflow 0
		.amdhsa_exception_fp_ieee_inexact 0
		.amdhsa_exception_int_div_zero 0
	.end_amdhsa_kernel
	.text
.Lfunc_end0:
	.size	fused_bias_gelu_kernel, .Lfunc_end0-fused_bias_gelu_kernel
	.cfi_endproc
                                        ; -- End function
	.set fused_bias_gelu_kernel.num_vgpr, 17
	.set fused_bias_gelu_kernel.num_agpr, 0
	.set fused_bias_gelu_kernel.numbered_sgpr, 18
	.set fused_bias_gelu_kernel.num_named_barrier, 0
	.set fused_bias_gelu_kernel.private_seg_size, 0
	.set fused_bias_gelu_kernel.uses_vcc, 1
	.set fused_bias_gelu_kernel.uses_flat_scratch, 0
	.set fused_bias_gelu_kernel.has_dyn_sized_stack, 0
	.set fused_bias_gelu_kernel.has_recursion, 0
	.set fused_bias_gelu_kernel.has_indirect_call, 0
	.section	.AMDGPU.csdata,"",@progbits
; Kernel info:
; codeLenInByte = 1856
; TotalNumSgprs: 24
; NumVgprs: 17
; NumAgprs: 0
; TotalNumVgprs: 17
; ScratchSize: 0
; MemoryBound: 0
; FloatMode: 240
; IeeeMode: 1
; LDSByteSize: 0 bytes/workgroup (compile time only)
; SGPRBlocks: 2
; VGPRBlocks: 2
; NumSGPRsForWavesPerEU: 24
; NumVGPRsForWavesPerEU: 17
; AccumOffset: 20
; Occupancy: 8
; WaveLimiterHint : 0
; COMPUTE_PGM_RSRC2:SCRATCH_EN: 0
; COMPUTE_PGM_RSRC2:USER_SGPR: 14
; COMPUTE_PGM_RSRC2:TRAP_HANDLER: 0
; COMPUTE_PGM_RSRC2:TGID_X_EN: 1
; COMPUTE_PGM_RSRC2:TGID_Y_EN: 0
; COMPUTE_PGM_RSRC2:TGID_Z_EN: 0
; COMPUTE_PGM_RSRC2:TIDIG_COMP_CNT: 0
; COMPUTE_PGM_RSRC3_GFX90A:ACCUM_OFFSET: 4
; COMPUTE_PGM_RSRC3_GFX90A:TG_SPLIT: 0
	.text
	.p2alignl 6, 3212836864
	.fill 256, 4, 3212836864
	.section	.AMDGPU.gpr_maximums,"",@progbits
	.set amdgpu.max_num_vgpr, 0
	.set amdgpu.max_num_agpr, 0
	.set amdgpu.max_num_sgpr, 0
	.set amdgpu.max_num_named_barrier, 0
	.text
	.section	.debug_abbrev,"",@progbits
	.byte	1                               ; Abbreviation Code
	.byte	17                              ; DW_TAG_compile_unit
	.byte	0                               ; DW_CHILDREN_no
	.byte	37                              ; DW_AT_producer
	.byte	14                              ; DW_FORM_strp
	.byte	19                              ; DW_AT_language
	.byte	5                               ; DW_FORM_data2
	.byte	3                               ; DW_AT_name
	.byte	14                              ; DW_FORM_strp
	.byte	16                              ; DW_AT_stmt_list
	.byte	23                              ; DW_FORM_sec_offset
	.byte	27                              ; DW_AT_comp_dir
	.byte	14                              ; DW_FORM_strp
	.byte	17                              ; DW_AT_low_pc
	.byte	1                               ; DW_FORM_addr
	.byte	18                              ; DW_AT_high_pc
	.byte	6                               ; DW_FORM_data4
	.byte	0                               ; EOM(1)
	.byte	0                               ; EOM(2)
	;; [unrolled: 1-line block ×3, first 2 shown]
	.section	.debug_info,"",@progbits
.Lcu_begin0:
	.long	.Ldebug_info_end0-.Ldebug_info_start0 ; Length of Unit
.Ldebug_info_start0:
	.short	4                               ; DWARF version number
	.long	.debug_abbrev                   ; Offset Into Abbrev. Section
	.byte	8                               ; Address Size (in bytes)
	.byte	1                               ; Abbrev [1] 0xb:0x1f DW_TAG_compile_unit
	.long	.Linfo_string0                  ; DW_AT_producer
	.short	2                               ; DW_AT_language
	.long	.Linfo_string1                  ; DW_AT_name
	.long	.Lline_table_start0             ; DW_AT_stmt_list
	.long	.Linfo_string2                  ; DW_AT_comp_dir
	.quad	.Lfunc_begin0                   ; DW_AT_low_pc
	.long	.Lfunc_end0-.Lfunc_begin0       ; DW_AT_high_pc
.Ldebug_info_end0:
	.section	.debug_str,"MS",@progbits,1
.Linfo_string0:
	.asciz	"triton"                        ; string offset=0
.Linfo_string1:
	.asciz	"fused_gelu.py"                 ; string offset=7
.Linfo_string2:
	.asciz	"/root/src/amdgpu-assembly/repos/triton-lang__triton-aot" ; string offset=21
	.section	".note.GNU-stack","",@progbits
	.amdgpu_metadata
---
amdhsa.kernels:
  - .agpr_count:     0
    .args:
      - .address_space:  global
        .offset:         0
        .size:           8
        .value_kind:     global_buffer
      - .address_space:  global
        .offset:         8
        .size:           8
        .value_kind:     global_buffer
      - .address_space:  global
        .offset:         16
        .size:           8
        .value_kind:     global_buffer
      - .offset:         24
        .size:           4
        .value_kind:     by_value
      - .offset:         28
        .size:           4
        .value_kind:     by_value
      - .address_space:  global
        .offset:         32
        .size:           8
        .value_kind:     global_buffer
      - .address_space:  global
        .offset:         40
        .size:           8
        .value_kind:     global_buffer
    .group_segment_fixed_size: 0
    .kernarg_segment_align: 8
    .kernarg_segment_size: 48
    .max_flat_workgroup_size: 512
    .name:           fused_bias_gelu_kernel
    .private_segment_fixed_size: 0
    .sgpr_count:     24
    .sgpr_spill_count: 0
    .symbol:         fused_bias_gelu_kernel.kd
    .uniform_work_group_size: 1
    .uses_dynamic_stack: false
    .vgpr_count:     17
    .vgpr_spill_count: 0
    .wavefront_size: 64
amdhsa.target:   amdgcn-amd-amdhsa--gfx950
amdhsa.version:
  - 1
  - 2
...

	.end_amdgpu_metadata
	.section	.debug_line,"",@progbits
.Lline_table_start0:
